;; amdgpu-corpus repo=ROCm/aiter kind=harvested arch=n/a opt=n/a

/root/src/amdgpu-assembly/repos/ROCm__aiter/hsa/gfx950/fmha_v3_bwd/bwd_hd128_odo_fp16_group.co:	file format elf64-amdgpu

Disassembly of section .text:

0000000000002400 <_ZN5aiter29fmha_bwd_hd128_odo_fp16_groupE>:
	s_and_b32 s1, s1, 0xffff                                   // 000000002400: 8601FF01 0000FFFF
	s_load_dwordx2 s[12:13], s[0:1], 0x0                       // 000000002408: C0060300 00000000
	s_load_dwordx2 s[20:21], s[0:1], 0x10                      // 000000002410: C0060500 00000010
	s_load_dwordx2 s[16:17], s[0:1], 0x20                      // 000000002418: C0060400 00000020
	s_load_dword s6, s[0:1], 0x30                              // 000000002420: C0020180 00000030
	s_load_dword s8, s[0:1], 0x50                              // 000000002428: C0020200 00000050
	s_load_dword s50, s[0:1], 0x60                             // 000000002430: C0020C80 00000060
	s_load_dword s52, s[0:1], 0x80                             // 000000002438: C0020D00 00000080
	s_load_dword s9, s[0:1], 0x90                              // 000000002440: C0020240 00000090
	s_load_dword s11, s[0:1], 0xb0                             // 000000002448: C00202C0 000000B0
	s_load_dword s37, s[0:1], 0xd0                             // 000000002450: C0020940 000000D0
	s_load_dwordx2 s[40:41], s[0:1], 0xe0                      // 000000002458: C0060A00 000000E0
	s_load_dwordx2 s[44:45], s[0:1], 0xf0                      // 000000002460: C0060B00 000000F0
	v_lshrrev_b32_e32 v1, 10, v0                               // 000000002468: 2002008A
	v_lshrrev_b32_e32 v2, 10, v1                               // 00000000246C: 2004028A
	v_and_b32_e32 v2, 0x3ff, v2                                // 000000002470: 260404FF 000003FF
	v_and_b32_e32 v1, 0x3ff, v1                                // 000000002478: 260202FF 000003FF
	v_and_b32_e32 v0, 0x3ff, v0                                // 000000002480: 260000FF 000003FF
	v_lshrrev_b32_e32 v3, 6, v0                                // 000000002488: 20060086
	v_and_b32_e32 v0, 63, v0                                   // 00000000248C: 260000BF
	s_mov_b32 s2, s2                                           // 000000002490: BE820002
	s_mov_b32 s3, s3                                           // 000000002494: BE830003
	s_mov_b32 s4, s4                                           // 000000002498: BE840004
	v_readfirstlane_b32 s30, v3                                // 00000000249C: 7E3C0503
	s_waitcnt lgkmcnt(0)                                       // 0000000024A0: BF8CC07F
	s_mul_i32 s31, s4, 4                                       // 0000000024A4: 921F8404
	s_add_u32 s40, s31, s40                                    // 0000000024A8: 8028281F
	s_addc_u32 s41, 0, s41                                     // 0000000024AC: 82292980
	s_load_dwordx2 s[42:43], s[40:41], 0x0                     // 0000000024B0: C0060A94 00000000
	s_add_u32 s44, s31, s44                                    // 0000000024B8: 802C2C1F
	s_addc_u32 s45, 0, s45                                     // 0000000024BC: 822D2D80
	s_load_dword s46, s[44:45], 0x0                            // 0000000024C0: C0020B96 00000000
	s_mov_b32 s15, 0x20000                                     // 0000000024C8: BE8F00FF 00020000
	s_mov_b32 s19, 0x20000                                     // 0000000024D0: BE9300FF 00020000
	s_mov_b32 s23, 0x20000                                     // 0000000024D8: BE9700FF 00020000
	s_and_b32 s13, s13, 0xffff                                 // 0000000024E0: 860DFF0D 0000FFFF
	s_and_b32 s17, s17, 0xffff                                 // 0000000024E8: 8611FF11 0000FFFF
	s_and_b32 s21, s21, 0xffff                                 // 0000000024F0: 8615FF15 0000FFFF
	s_or_b32 s13, s13, 0x40000                                 // 0000000024F8: 870DFF0D 00040000
	s_or_b32 s17, s17, 0x40000                                 // 000000002500: 8711FF11 00040000
	s_or_b32 s21, s21, 0x40000                                 // 000000002508: 8715FF15 00040000
	v_mov_b32_e32 v39, 0                                       // 000000002510: 7E4E0280
	s_mov_b32 s24, s12                                         // 000000002514: BE98000C
	s_mov_b32 s25, s13                                         // 000000002518: BE99000D
	s_mov_b32 s26, s16                                         // 00000000251C: BE9A0010
	s_mov_b32 s27, s17                                         // 000000002520: BE9B0011
	s_mov_b32 s28, s20                                         // 000000002524: BE9C0014
	s_mov_b32 s29, s21                                         // 000000002528: BE9D0015
	s_waitcnt lgkmcnt(0)                                       // 00000000252C: BF8CC07F
	s_mul_i32 s31, s2, 0x80                                    // 000000002530: 921FFF02 00000080
	s_sub_i32 s39, s43, s42                                    // 000000002538: 81A72A2B
	s_mov_b32 s42, s46                                         // 00000000253C: BEAA002E
	s_cmp_ge_i32 s31, s39                                      // 000000002540: BF03271F
	s_cbranch_scc1 label_03A9                                  // 000000002544: BF850357
	s_mul_i32 s31, s8, 0x80                                    // 000000002548: 921FFF08 00000080
	s_mul_i32 s31, s2, s31                                     // 000000002550: 921F1F02
	s_mul_i32 s32, s3, s6                                      // 000000002554: 92200603
	s_mul_i32 s33, s42, s8                                     // 000000002558: 9221082A
	s_mul_hi_u32 s35, s42, s8                                  // 00000000255C: 9623082A
	s_add_u32 s34, s31, s32                                    // 000000002560: 8022201F
	s_add_u32 s34, s34, s33                                    // 000000002564: 80222122
	s_addc_u32 s35, s35, 0                                     // 000000002568: 82238023
	s_mul_i32 s32, s39, s8                                     // 00000000256C: 92200827
	s_sub_i32 s32, s32, s31                                    // 000000002570: 81A01F20
	s_mov_b32 s14, s32                                         // 000000002574: BE8E0020
	s_add_u32 s12, s34, s24                                    // 000000002578: 800C1822
	s_addc_u32 s13, s35, s25                                   // 00000000257C: 820D1923
	s_mul_i32 s31, s52, 0x80                                   // 000000002580: 921FFF34 00000080
	s_mul_i32 s31, s2, s31                                     // 000000002588: 921F1F02
	s_mul_i32 s32, s3, s50                                     // 00000000258C: 92203203
	s_mul_i32 s33, s42, s52                                    // 000000002590: 9221342A
	s_mul_hi_u32 s35, s42, s52                                 // 000000002594: 9623342A
	s_add_u32 s53, s31, s32                                    // 000000002598: 8035201F
	s_add_u32 s53, s53, s33                                    // 00000000259C: 80352135
	s_addc_u32 s35, s35, 0                                     // 0000000025A0: 82238023
	s_mul_i32 s32, s39, s52                                    // 0000000025A4: 92203427
	s_sub_i32 s32, s32, s31                                    // 0000000025A8: 81A01F20
	s_mov_b32 s22, s32                                         // 0000000025AC: BE960020
	s_add_u32 s20, s53, s28                                    // 0000000025B0: 80141C35
	s_addc_u32 s21, s35, s29                                   // 0000000025B4: 82151D23
	s_mul_i32 s31, s11, 0x80                                   // 0000000025B8: 921FFF0B 00000080
	s_mul_i32 s31, s2, s31                                     // 0000000025C0: 921F1F02
	s_mul_i32 s32, s3, s9                                      // 0000000025C4: 92200903
	s_add_u32 s35, s31, s32                                    // 0000000025C8: 8023201F
	s_mul_i32 s32, s39, s11                                    // 0000000025CC: 92200B27
	s_sub_i32 s32, s32, s31                                    // 0000000025D0: 81A01F20
	s_mov_b32 s18, s32                                         // 0000000025D4: BE920020
	s_add_u32 s16, s35, s26                                    // 0000000025D8: 80101A23
	s_addc_u32 s17, 0, s27                                     // 0000000025DC: 82111B80
	s_mul_i32 s31, s42, s11                                    // 0000000025E0: 921F0B2A
	s_mul_hi_u32 s32, s42, s11                                 // 0000000025E4: 96200B2A
	s_and_b32 s32, s32, 0xffff                                 // 0000000025E8: 8620FF20 0000FFFF
	s_add_u32 s16, s16, s31                                    // 0000000025F0: 80101F10
	s_addc_u32 s17, s17, s32                                   // 0000000025F4: 82112011
	v_readfirstlane_b32 s30, v3                                // 0000000025F8: 7E3C0503
	v_lshrrev_b32_e32 v28, 3, v0                               // 0000000025FC: 20380083
	v_mul_i32_i24_e32 v28, s8, v28                             // 000000002600: 0C383808
	v_and_b32_e32 v29, 7, v0                                   // 000000002604: 263A0087
	v_mul_i32_i24_e32 v29, 16, v29                             // 000000002608: 0C3A3A90
	v_add_u32_e32 v29, v28, v29                                // 00000000260C: 683A3B1C
	v_mov_b32_e32 v4, v29                                      // 000000002610: 7E08031D
	s_mul_i32 s31, 32, s8                                      // 000000002614: 921F08A0
	s_mul_i32 s31, s30, s31                                    // 000000002618: 921F1F1E
	v_add_u32_e32 v4, s31, v4                                  // 00000000261C: 6808081F
	v_lshrrev_b32_e32 v28, 3, v0                               // 000000002620: 20380083
	v_mul_i32_i24_e32 v28, s52, v28                            // 000000002624: 0C383834
	v_and_b32_e32 v29, 7, v0                                   // 000000002628: 263A0087
	v_mul_i32_i24_e32 v29, 16, v29                             // 00000000262C: 0C3A3A90
	v_add_u32_e32 v29, v28, v29                                // 000000002630: 683A3B1C
	v_mov_b32_e32 v37, v29                                     // 000000002634: 7E4A031D
	s_mul_i32 s31, 32, s52                                     // 000000002638: 921F34A0
	s_mul_i32 s31, s30, s31                                    // 00000000263C: 921F1F1E
	v_add_u32_e32 v37, s31, v37                                // 000000002640: 684A4A1F
	v_lshrrev_b32_e32 v5, 3, v0                                // 000000002644: 200A0083
	v_mul_i32_i24_e32 v5, s11, v5                              // 000000002648: 0C0A0A0B
	v_and_b32_e32 v28, 7, v0                                   // 00000000264C: 26380087
	v_lshrrev_b32_e32 v28, 1, v28                              // 000000002650: 20383881
	v_lshlrev_b32_e32 v28, 5, v28                              // 000000002654: 24383885
	v_add_u32_e32 v5, v5, v28                                  // 000000002658: 680A3905
	s_mul_i32 s31, 32, s11                                     // 00000000265C: 921F0BA0
	s_mul_i32 s31, s30, s31                                    // 000000002660: 921F1F1E
	v_add_u32_e32 v5, s31, v5                                  // 000000002664: 680A0A1F
	v_and_b32_e32 v28, 7, v0                                   // 000000002668: 26380087
	v_lshlrev_b32_e32 v28, 3, v28                              // 00000000266C: 24383883
	s_sub_i32 s31, s37, 64                                     // 000000002670: 819FC025
	v_cmp_lt_u32_e64 s[36:37], v28, s31                        // 000000002674: D0C90024 00003F1C
	v_and_b32_e32 v28, 1, v0                                   // 00000000267C: 26380081
	v_cmp_eq_u32_e64 s[38:39], v28, 0                          // 000000002680: D0CA0026 0001011C
	v_lshlrev_b32_e32 v24, 2, v0                               // 000000002688: 24300082
	s_lshl_b32 s31, s30, 8                                     // 00000000268C: 8E1F881E
	v_add_u32_e32 v24, s31, v24                                // 000000002690: 6830301F
	v_lshrrev_b32_e32 v26, 3, v0                               // 000000002694: 20340083
	v_mul_i32_i24_e32 v26, 32, v26                             // 000000002698: 0C3434A0
	v_add_u32_e32 v26, s31, v26                                // 00000000269C: 6834341F
	v_add_u32_e32 v27, 16, v26                                 // 0000000026A0: 68363490
	v_mov_b32_e32 v22, 0                                       // 0000000026A4: 7E2C0280
	s_mul_i32 s31, s8, 0                                       // 0000000026A8: 921F8008
	s_lshl_b32 s31, s31, 3                                     // 0000000026AC: 8E1F831F
	v_add_u32_e32 v23, s31, v4                                 // 0000000026B0: 682E081F
	s_mul_i32 s31, s52, 0                                      // 0000000026B4: 921F8034
	s_lshl_b32 s31, s31, 3                                     // 0000000026B8: 8E1F831F
	v_add_u32_e32 v38, s31, v37                                // 0000000026BC: 684C4A1F
	v_and_b32_e32 v36, 7, v0                                   // 0000000026C0: 26480087
	v_cmp_eq_u32_e64 s[48:49], v36, 0                          // 0000000026C4: D0CA0030 00010124
	buffer_load_dwordx4 v[14:17], v38, s[20:23], 0 offen       // 0000000026CC: E05C1000 80050E26
	buffer_load_dwordx4 v[6:9], v23, s[12:15], 0 offen         // 0000000026D4: E05C1000 80030617
	v_add_u32_e32 v23, 0x80, v23                               // 0000000026DC: 682E2EFF 00000080
	v_add_u32_e32 v38, 0x80, v38                               // 0000000026E4: 684C4CFF 00000080
	s_waitcnt vmcnt(0) expcnt(0) lgkmcnt(0)                    // 0000000026EC: BF8C0000
	s_barrier                                                  // 0000000026F0: BF8A0000
	v_mov_b32_e32 v18, 0                                       // 0000000026F4: 7E240280
	v_mov_b32_e32 v10, 0                                       // 0000000026F8: 7E140280
	v_mov_b32_e32 v19, 0                                       // 0000000026FC: 7E260280
	v_mov_b32_e32 v11, 0                                       // 000000002700: 7E160280
	v_mov_b32_e32 v20, 0                                       // 000000002704: 7E280280
	v_mov_b32_e32 v12, 0                                       // 000000002708: 7E180280
	v_mov_b32_e32 v21, 0                                       // 00000000270C: 7E2A0280
	v_mov_b32_e32 v13, 0                                       // 000000002710: 7E1A0280
	s_mov_b64 exec, s[36:37]                                   // 000000002714: BEFE0124
	buffer_load_dwordx4 v[18:21], v38, s[20:23], 0 offen       // 000000002718: E05C1000 80051226
	buffer_load_dwordx4 v[10:13], v23, s[12:15], 0 offen       // 000000002720: E05C1000 80030A17
	s_mov_b64 exec, -1                                         // 000000002728: BEFE01C1
	v_add_u32_e32 v23, 0x80, v23                               // 00000000272C: 682E2EFF 00000080
	v_add_u32_e32 v38, 0x80, v38                               // 000000002734: 684C4CFF 00000080
	v_mov_b32_e32 v32, 0                                       // 00000000273C: 7E400280
	v_and_b32_e32 v28, 0xffff, v6                              // 000000002740: 26380CFF 0000FFFF
	v_lshrrev_b32_e32 v29, 16, v6                              // 000000002748: 203A0C90
	v_and_b32_e32 v30, 0xffff, v14                             // 00000000274C: 263C1CFF 0000FFFF
	v_lshrrev_b32_e32 v31, 16, v14                             // 000000002754: 203E1C90
	v_cvt_f32_f16_e32 v28, v28                                 // 000000002758: 7E38171C
	v_cvt_f32_f16_e32 v30, v30                                 // 00000000275C: 7E3C171E
	v_cvt_f32_f16_e32 v29, v29                                 // 000000002760: 7E3A171D
	v_cvt_f32_f16_e32 v31, v31                                 // 000000002764: 7E3E171F
	v_fma_f32 v32, v28, v30, v32                               // 000000002768: D1CB0020 04823D1C
	v_fma_f32 v32, v29, v31, v32                               // 000000002770: D1CB0020 04823F1D
	v_and_b32_e32 v28, 0xffff, v7                              // 000000002778: 26380EFF 0000FFFF
	v_lshrrev_b32_e32 v29, 16, v7                              // 000000002780: 203A0E90
	v_and_b32_e32 v30, 0xffff, v15                             // 000000002784: 263C1EFF 0000FFFF
	v_lshrrev_b32_e32 v31, 16, v15                             // 00000000278C: 203E1E90
	v_cvt_f32_f16_e32 v28, v28                                 // 000000002790: 7E38171C
	v_cvt_f32_f16_e32 v30, v30                                 // 000000002794: 7E3C171E
	v_cvt_f32_f16_e32 v29, v29                                 // 000000002798: 7E3A171D
	v_cvt_f32_f16_e32 v31, v31                                 // 00000000279C: 7E3E171F
	v_fma_f32 v32, v28, v30, v32                               // 0000000027A0: D1CB0020 04823D1C
	v_fma_f32 v32, v29, v31, v32                               // 0000000027A8: D1CB0020 04823F1D
	v_and_b32_e32 v28, 0xffff, v8                              // 0000000027B0: 263810FF 0000FFFF
	v_lshrrev_b32_e32 v29, 16, v8                              // 0000000027B8: 203A1090
	v_and_b32_e32 v30, 0xffff, v16                             // 0000000027BC: 263C20FF 0000FFFF
	v_lshrrev_b32_e32 v31, 16, v16                             // 0000000027C4: 203E2090
	v_cvt_f32_f16_e32 v28, v28                                 // 0000000027C8: 7E38171C
	v_cvt_f32_f16_e32 v30, v30                                 // 0000000027CC: 7E3C171E
	v_cvt_f32_f16_e32 v29, v29                                 // 0000000027D0: 7E3A171D
	v_cvt_f32_f16_e32 v31, v31                                 // 0000000027D4: 7E3E171F
	v_fma_f32 v32, v28, v30, v32                               // 0000000027D8: D1CB0020 04823D1C
	v_fma_f32 v32, v29, v31, v32                               // 0000000027E0: D1CB0020 04823F1D
	v_and_b32_e32 v28, 0xffff, v9                              // 0000000027E8: 263812FF 0000FFFF
	v_lshrrev_b32_e32 v29, 16, v9                              // 0000000027F0: 203A1290
	v_and_b32_e32 v30, 0xffff, v17                             // 0000000027F4: 263C22FF 0000FFFF
	v_lshrrev_b32_e32 v31, 16, v17                             // 0000000027FC: 203E2290
	v_cvt_f32_f16_e32 v28, v28                                 // 000000002800: 7E38171C
	v_cvt_f32_f16_e32 v30, v30                                 // 000000002804: 7E3C171E
	v_cvt_f32_f16_e32 v29, v29                                 // 000000002808: 7E3A171D
	v_cvt_f32_f16_e32 v31, v31                                 // 00000000280C: 7E3E171F
	v_fma_f32 v32, v28, v30, v32                               // 000000002810: D1CB0020 04823D1C
	v_fma_f32 v32, v29, v31, v32                               // 000000002818: D1CB0020 04823F1D
	ds_write_b32 v24, v32                                      // 000000002820: D81A0000 00002018
	s_waitcnt lgkmcnt(0)                                       // 000000002828: BF8CC07F
	s_mov_b64 exec, s[48:49]                                   // 00000000282C: BEFE0130
	ds_read_b128 v[28:31], v26                                 // 000000002830: D9FE0000 1C00001A
	s_waitcnt lgkmcnt(0)                                       // 000000002838: BF8CC07F
	ds_read_b128 v[32:35], v27                                 // 00000000283C: D9FE0000 2000001B
	s_waitcnt lgkmcnt(0)                                       // 000000002844: BF8CC07F
	v_add_f32_e32 v22, v28, v22                                // 000000002848: 022C2D1C
	v_add_f32_e32 v22, v29, v22                                // 00000000284C: 022C2D1D
	v_add_f32_e32 v22, v30, v22                                // 000000002850: 022C2D1E
	v_add_f32_e32 v22, v31, v22                                // 000000002854: 022C2D1F
	v_add_f32_e32 v22, v32, v22                                // 000000002858: 022C2D20
	v_add_f32_e32 v22, v33, v22                                // 00000000285C: 022C2D21
	v_add_f32_e32 v22, v34, v22                                // 000000002860: 022C2D22
	v_add_f32_e32 v22, v35, v22                                // 000000002864: 022C2D23
	s_mov_b64 exec, -1                                         // 000000002868: BEFE01C1
	s_waitcnt vmcnt(0) expcnt(0) lgkmcnt(0)                    // 00000000286C: BF8C0000
	s_barrier                                                  // 000000002870: BF8A0000
	v_mov_b32_e32 v32, 0                                       // 000000002874: 7E400280
	v_and_b32_e32 v28, 0xffff, v10                             // 000000002878: 263814FF 0000FFFF
	v_lshrrev_b32_e32 v29, 16, v10                             // 000000002880: 203A1490
	v_and_b32_e32 v30, 0xffff, v18                             // 000000002884: 263C24FF 0000FFFF
	v_lshrrev_b32_e32 v31, 16, v18                             // 00000000288C: 203E2490
	v_cvt_f32_f16_e32 v28, v28                                 // 000000002890: 7E38171C
	v_cvt_f32_f16_e32 v30, v30                                 // 000000002894: 7E3C171E
	v_cvt_f32_f16_e32 v29, v29                                 // 000000002898: 7E3A171D
	v_cvt_f32_f16_e32 v31, v31                                 // 00000000289C: 7E3E171F
	v_fma_f32 v32, v28, v30, v32                               // 0000000028A0: D1CB0020 04823D1C
	v_fma_f32 v32, v29, v31, v32                               // 0000000028A8: D1CB0020 04823F1D
	v_and_b32_e32 v28, 0xffff, v11                             // 0000000028B0: 263816FF 0000FFFF
	v_lshrrev_b32_e32 v29, 16, v11                             // 0000000028B8: 203A1690
	v_and_b32_e32 v30, 0xffff, v19                             // 0000000028BC: 263C26FF 0000FFFF
	v_lshrrev_b32_e32 v31, 16, v19                             // 0000000028C4: 203E2690
	v_cvt_f32_f16_e32 v28, v28                                 // 0000000028C8: 7E38171C
	v_cvt_f32_f16_e32 v30, v30                                 // 0000000028CC: 7E3C171E
	v_cvt_f32_f16_e32 v29, v29                                 // 0000000028D0: 7E3A171D
	v_cvt_f32_f16_e32 v31, v31                                 // 0000000028D4: 7E3E171F
	v_fma_f32 v32, v28, v30, v32                               // 0000000028D8: D1CB0020 04823D1C
	v_fma_f32 v32, v29, v31, v32                               // 0000000028E0: D1CB0020 04823F1D
	v_and_b32_e32 v28, 0xffff, v12                             // 0000000028E8: 263818FF 0000FFFF
	v_lshrrev_b32_e32 v29, 16, v12                             // 0000000028F0: 203A1890
	v_and_b32_e32 v30, 0xffff, v20                             // 0000000028F4: 263C28FF 0000FFFF
	v_lshrrev_b32_e32 v31, 16, v20                             // 0000000028FC: 203E2890
	v_cvt_f32_f16_e32 v28, v28                                 // 000000002900: 7E38171C
	v_cvt_f32_f16_e32 v30, v30                                 // 000000002904: 7E3C171E
	v_cvt_f32_f16_e32 v29, v29                                 // 000000002908: 7E3A171D
	v_cvt_f32_f16_e32 v31, v31                                 // 00000000290C: 7E3E171F
	v_fma_f32 v32, v28, v30, v32                               // 000000002910: D1CB0020 04823D1C
	v_fma_f32 v32, v29, v31, v32                               // 000000002918: D1CB0020 04823F1D
	v_and_b32_e32 v28, 0xffff, v13                             // 000000002920: 26381AFF 0000FFFF
	v_lshrrev_b32_e32 v29, 16, v13                             // 000000002928: 203A1A90
	v_and_b32_e32 v30, 0xffff, v21                             // 00000000292C: 263C2AFF 0000FFFF
	v_lshrrev_b32_e32 v31, 16, v21                             // 000000002934: 203E2A90
	v_cvt_f32_f16_e32 v28, v28                                 // 000000002938: 7E38171C
	v_cvt_f32_f16_e32 v30, v30                                 // 00000000293C: 7E3C171E
	v_cvt_f32_f16_e32 v29, v29                                 // 000000002940: 7E3A171D
	v_cvt_f32_f16_e32 v31, v31                                 // 000000002944: 7E3E171F
	v_fma_f32 v32, v28, v30, v32                               // 000000002948: D1CB0020 04823D1C
	v_fma_f32 v32, v29, v31, v32                               // 000000002950: D1CB0020 04823F1D
	ds_write_b32 v24, v32                                      // 000000002958: D81A0000 00002018
	s_waitcnt lgkmcnt(0)                                       // 000000002960: BF8CC07F
	s_mov_b64 exec, s[48:49]                                   // 000000002964: BEFE0130
	ds_read_b128 v[28:31], v26                                 // 000000002968: D9FE0000 1C00001A
	s_waitcnt lgkmcnt(0)                                       // 000000002970: BF8CC07F
	ds_read_b128 v[32:35], v27                                 // 000000002974: D9FE0000 2000001B
	s_waitcnt lgkmcnt(0)                                       // 00000000297C: BF8CC07F
	v_add_f32_e32 v22, v28, v22                                // 000000002980: 022C2D1C
	v_add_f32_e32 v22, v29, v22                                // 000000002984: 022C2D1D
	v_add_f32_e32 v22, v30, v22                                // 000000002988: 022C2D1E
	v_add_f32_e32 v22, v31, v22                                // 00000000298C: 022C2D1F
	v_add_f32_e32 v22, v32, v22                                // 000000002990: 022C2D20
	v_add_f32_e32 v22, v33, v22                                // 000000002994: 022C2D21
	v_add_f32_e32 v22, v34, v22                                // 000000002998: 022C2D22
	v_add_f32_e32 v22, v35, v22                                // 00000000299C: 022C2D23
	s_mov_b64 exec, -1                                         // 0000000029A0: BEFE01C1
	s_mul_i32 s31, s8, 1                                       // 0000000029A4: 921F8108
	s_lshl_b32 s31, s31, 3                                     // 0000000029A8: 8E1F831F
	v_add_u32_e32 v23, s31, v4                                 // 0000000029AC: 682E081F
	s_mul_i32 s31, s52, 1                                      // 0000000029B0: 921F8134
	s_lshl_b32 s31, s31, 3                                     // 0000000029B4: 8E1F831F
	v_add_u32_e32 v38, s31, v37                                // 0000000029B8: 684C4A1F
	v_and_b32_e32 v36, 7, v0                                   // 0000000029BC: 26480087
	v_cmp_eq_u32_e64 s[48:49], v36, 2                          // 0000000029C0: D0CA0030 00010524
	buffer_load_dwordx4 v[14:17], v38, s[20:23], 0 offen       // 0000000029C8: E05C1000 80050E26
	buffer_load_dwordx4 v[6:9], v23, s[12:15], 0 offen         // 0000000029D0: E05C1000 80030617
	v_add_u32_e32 v23, 0x80, v23                               // 0000000029D8: 682E2EFF 00000080
	v_add_u32_e32 v38, 0x80, v38                               // 0000000029E0: 684C4CFF 00000080
	s_waitcnt vmcnt(0) expcnt(0) lgkmcnt(0)                    // 0000000029E8: BF8C0000
	s_barrier                                                  // 0000000029EC: BF8A0000
	v_mov_b32_e32 v18, 0                                       // 0000000029F0: 7E240280
	v_mov_b32_e32 v10, 0                                       // 0000000029F4: 7E140280
	v_mov_b32_e32 v19, 0                                       // 0000000029F8: 7E260280
	v_mov_b32_e32 v11, 0                                       // 0000000029FC: 7E160280
	v_mov_b32_e32 v20, 0                                       // 000000002A00: 7E280280
	v_mov_b32_e32 v12, 0                                       // 000000002A04: 7E180280
	v_mov_b32_e32 v21, 0                                       // 000000002A08: 7E2A0280
	v_mov_b32_e32 v13, 0                                       // 000000002A0C: 7E1A0280
	s_mov_b64 exec, s[36:37]                                   // 000000002A10: BEFE0124
	buffer_load_dwordx4 v[18:21], v38, s[20:23], 0 offen       // 000000002A14: E05C1000 80051226
	buffer_load_dwordx4 v[10:13], v23, s[12:15], 0 offen       // 000000002A1C: E05C1000 80030A17
	s_mov_b64 exec, -1                                         // 000000002A24: BEFE01C1
	v_add_u32_e32 v23, 0x80, v23                               // 000000002A28: 682E2EFF 00000080
	v_add_u32_e32 v38, 0x80, v38                               // 000000002A30: 684C4CFF 00000080
	v_mov_b32_e32 v32, 0                                       // 000000002A38: 7E400280
	v_and_b32_e32 v28, 0xffff, v6                              // 000000002A3C: 26380CFF 0000FFFF
	v_lshrrev_b32_e32 v29, 16, v6                              // 000000002A44: 203A0C90
	v_and_b32_e32 v30, 0xffff, v14                             // 000000002A48: 263C1CFF 0000FFFF
	v_lshrrev_b32_e32 v31, 16, v14                             // 000000002A50: 203E1C90
	v_cvt_f32_f16_e32 v28, v28                                 // 000000002A54: 7E38171C
	v_cvt_f32_f16_e32 v30, v30                                 // 000000002A58: 7E3C171E
	v_cvt_f32_f16_e32 v29, v29                                 // 000000002A5C: 7E3A171D
	v_cvt_f32_f16_e32 v31, v31                                 // 000000002A60: 7E3E171F
	v_fma_f32 v32, v28, v30, v32                               // 000000002A64: D1CB0020 04823D1C
	v_fma_f32 v32, v29, v31, v32                               // 000000002A6C: D1CB0020 04823F1D
	v_and_b32_e32 v28, 0xffff, v7                              // 000000002A74: 26380EFF 0000FFFF
	v_lshrrev_b32_e32 v29, 16, v7                              // 000000002A7C: 203A0E90
	v_and_b32_e32 v30, 0xffff, v15                             // 000000002A80: 263C1EFF 0000FFFF
	v_lshrrev_b32_e32 v31, 16, v15                             // 000000002A88: 203E1E90
	v_cvt_f32_f16_e32 v28, v28                                 // 000000002A8C: 7E38171C
	v_cvt_f32_f16_e32 v30, v30                                 // 000000002A90: 7E3C171E
	v_cvt_f32_f16_e32 v29, v29                                 // 000000002A94: 7E3A171D
	v_cvt_f32_f16_e32 v31, v31                                 // 000000002A98: 7E3E171F
	v_fma_f32 v32, v28, v30, v32                               // 000000002A9C: D1CB0020 04823D1C
	v_fma_f32 v32, v29, v31, v32                               // 000000002AA4: D1CB0020 04823F1D
	v_and_b32_e32 v28, 0xffff, v8                              // 000000002AAC: 263810FF 0000FFFF
	v_lshrrev_b32_e32 v29, 16, v8                              // 000000002AB4: 203A1090
	v_and_b32_e32 v30, 0xffff, v16                             // 000000002AB8: 263C20FF 0000FFFF
	v_lshrrev_b32_e32 v31, 16, v16                             // 000000002AC0: 203E2090
	v_cvt_f32_f16_e32 v28, v28                                 // 000000002AC4: 7E38171C
	v_cvt_f32_f16_e32 v30, v30                                 // 000000002AC8: 7E3C171E
	v_cvt_f32_f16_e32 v29, v29                                 // 000000002ACC: 7E3A171D
	v_cvt_f32_f16_e32 v31, v31                                 // 000000002AD0: 7E3E171F
	v_fma_f32 v32, v28, v30, v32                               // 000000002AD4: D1CB0020 04823D1C
	v_fma_f32 v32, v29, v31, v32                               // 000000002ADC: D1CB0020 04823F1D
	v_and_b32_e32 v28, 0xffff, v9                              // 000000002AE4: 263812FF 0000FFFF
	v_lshrrev_b32_e32 v29, 16, v9                              // 000000002AEC: 203A1290
	v_and_b32_e32 v30, 0xffff, v17                             // 000000002AF0: 263C22FF 0000FFFF
	v_lshrrev_b32_e32 v31, 16, v17                             // 000000002AF8: 203E2290
	v_cvt_f32_f16_e32 v28, v28                                 // 000000002AFC: 7E38171C
	v_cvt_f32_f16_e32 v30, v30                                 // 000000002B00: 7E3C171E
	v_cvt_f32_f16_e32 v29, v29                                 // 000000002B04: 7E3A171D
	v_cvt_f32_f16_e32 v31, v31                                 // 000000002B08: 7E3E171F
	v_fma_f32 v32, v28, v30, v32                               // 000000002B0C: D1CB0020 04823D1C
	v_fma_f32 v32, v29, v31, v32                               // 000000002B14: D1CB0020 04823F1D
	ds_write_b32 v24, v32                                      // 000000002B1C: D81A0000 00002018
	s_waitcnt lgkmcnt(0)                                       // 000000002B24: BF8CC07F
	s_mov_b64 exec, s[48:49]                                   // 000000002B28: BEFE0130
	ds_read_b128 v[28:31], v26                                 // 000000002B2C: D9FE0000 1C00001A
	s_waitcnt lgkmcnt(0)                                       // 000000002B34: BF8CC07F
	ds_read_b128 v[32:35], v27                                 // 000000002B38: D9FE0000 2000001B
	s_waitcnt lgkmcnt(0)                                       // 000000002B40: BF8CC07F
	v_add_f32_e32 v22, v28, v22                                // 000000002B44: 022C2D1C
	v_add_f32_e32 v22, v29, v22                                // 000000002B48: 022C2D1D
	v_add_f32_e32 v22, v30, v22                                // 000000002B4C: 022C2D1E
	v_add_f32_e32 v22, v31, v22                                // 000000002B50: 022C2D1F
	v_add_f32_e32 v22, v32, v22                                // 000000002B54: 022C2D20
	v_add_f32_e32 v22, v33, v22                                // 000000002B58: 022C2D21
	v_add_f32_e32 v22, v34, v22                                // 000000002B5C: 022C2D22
	v_add_f32_e32 v22, v35, v22                                // 000000002B60: 022C2D23
	s_mov_b64 exec, -1                                         // 000000002B64: BEFE01C1
	s_waitcnt vmcnt(0) expcnt(0) lgkmcnt(0)                    // 000000002B68: BF8C0000
	s_barrier                                                  // 000000002B6C: BF8A0000
	v_mov_b32_e32 v32, 0                                       // 000000002B70: 7E400280
	v_and_b32_e32 v28, 0xffff, v10                             // 000000002B74: 263814FF 0000FFFF
	v_lshrrev_b32_e32 v29, 16, v10                             // 000000002B7C: 203A1490
	v_and_b32_e32 v30, 0xffff, v18                             // 000000002B80: 263C24FF 0000FFFF
	v_lshrrev_b32_e32 v31, 16, v18                             // 000000002B88: 203E2490
	v_cvt_f32_f16_e32 v28, v28                                 // 000000002B8C: 7E38171C
	v_cvt_f32_f16_e32 v30, v30                                 // 000000002B90: 7E3C171E
	v_cvt_f32_f16_e32 v29, v29                                 // 000000002B94: 7E3A171D
	v_cvt_f32_f16_e32 v31, v31                                 // 000000002B98: 7E3E171F
	v_fma_f32 v32, v28, v30, v32                               // 000000002B9C: D1CB0020 04823D1C
	v_fma_f32 v32, v29, v31, v32                               // 000000002BA4: D1CB0020 04823F1D
	v_and_b32_e32 v28, 0xffff, v11                             // 000000002BAC: 263816FF 0000FFFF
	v_lshrrev_b32_e32 v29, 16, v11                             // 000000002BB4: 203A1690
	v_and_b32_e32 v30, 0xffff, v19                             // 000000002BB8: 263C26FF 0000FFFF
	v_lshrrev_b32_e32 v31, 16, v19                             // 000000002BC0: 203E2690
	v_cvt_f32_f16_e32 v28, v28                                 // 000000002BC4: 7E38171C
	v_cvt_f32_f16_e32 v30, v30                                 // 000000002BC8: 7E3C171E
	v_cvt_f32_f16_e32 v29, v29                                 // 000000002BCC: 7E3A171D
	v_cvt_f32_f16_e32 v31, v31                                 // 000000002BD0: 7E3E171F
	v_fma_f32 v32, v28, v30, v32                               // 000000002BD4: D1CB0020 04823D1C
	v_fma_f32 v32, v29, v31, v32                               // 000000002BDC: D1CB0020 04823F1D
	v_and_b32_e32 v28, 0xffff, v12                             // 000000002BE4: 263818FF 0000FFFF
	v_lshrrev_b32_e32 v29, 16, v12                             // 000000002BEC: 203A1890
	v_and_b32_e32 v30, 0xffff, v20                             // 000000002BF0: 263C28FF 0000FFFF
	v_lshrrev_b32_e32 v31, 16, v20                             // 000000002BF8: 203E2890
	v_cvt_f32_f16_e32 v28, v28                                 // 000000002BFC: 7E38171C
	v_cvt_f32_f16_e32 v30, v30                                 // 000000002C00: 7E3C171E
	v_cvt_f32_f16_e32 v29, v29                                 // 000000002C04: 7E3A171D
	v_cvt_f32_f16_e32 v31, v31                                 // 000000002C08: 7E3E171F
	v_fma_f32 v32, v28, v30, v32                               // 000000002C0C: D1CB0020 04823D1C
	v_fma_f32 v32, v29, v31, v32                               // 000000002C14: D1CB0020 04823F1D
	v_and_b32_e32 v28, 0xffff, v13                             // 000000002C1C: 26381AFF 0000FFFF
	v_lshrrev_b32_e32 v29, 16, v13                             // 000000002C24: 203A1A90
	v_and_b32_e32 v30, 0xffff, v21                             // 000000002C28: 263C2AFF 0000FFFF
	v_lshrrev_b32_e32 v31, 16, v21                             // 000000002C30: 203E2A90
	v_cvt_f32_f16_e32 v28, v28                                 // 000000002C34: 7E38171C
	v_cvt_f32_f16_e32 v30, v30                                 // 000000002C38: 7E3C171E
	v_cvt_f32_f16_e32 v29, v29                                 // 000000002C3C: 7E3A171D
	v_cvt_f32_f16_e32 v31, v31                                 // 000000002C40: 7E3E171F
	v_fma_f32 v32, v28, v30, v32                               // 000000002C44: D1CB0020 04823D1C
	v_fma_f32 v32, v29, v31, v32                               // 000000002C4C: D1CB0020 04823F1D
	ds_write_b32 v24, v32                                      // 000000002C54: D81A0000 00002018
	s_waitcnt lgkmcnt(0)                                       // 000000002C5C: BF8CC07F
	s_mov_b64 exec, s[48:49]                                   // 000000002C60: BEFE0130
	ds_read_b128 v[28:31], v26                                 // 000000002C64: D9FE0000 1C00001A
	s_waitcnt lgkmcnt(0)                                       // 000000002C6C: BF8CC07F
	ds_read_b128 v[32:35], v27                                 // 000000002C70: D9FE0000 2000001B
	s_waitcnt lgkmcnt(0)                                       // 000000002C78: BF8CC07F
	v_add_f32_e32 v22, v28, v22                                // 000000002C7C: 022C2D1C
	v_add_f32_e32 v22, v29, v22                                // 000000002C80: 022C2D1D
	v_add_f32_e32 v22, v30, v22                                // 000000002C84: 022C2D1E
	v_add_f32_e32 v22, v31, v22                                // 000000002C88: 022C2D1F
	v_add_f32_e32 v22, v32, v22                                // 000000002C8C: 022C2D20
	v_add_f32_e32 v22, v33, v22                                // 000000002C90: 022C2D21
	v_add_f32_e32 v22, v34, v22                                // 000000002C94: 022C2D22
	v_add_f32_e32 v22, v35, v22                                // 000000002C98: 022C2D23
	s_mov_b64 exec, -1                                         // 000000002C9C: BEFE01C1
	s_mul_i32 s31, s8, 2                                       // 000000002CA0: 921F8208
	s_lshl_b32 s31, s31, 3                                     // 000000002CA4: 8E1F831F
	v_add_u32_e32 v23, s31, v4                                 // 000000002CA8: 682E081F
	s_mul_i32 s31, s52, 2                                      // 000000002CAC: 921F8234
	s_lshl_b32 s31, s31, 3                                     // 000000002CB0: 8E1F831F
	v_add_u32_e32 v38, s31, v37                                // 000000002CB4: 684C4A1F
	v_and_b32_e32 v36, 7, v0                                   // 000000002CB8: 26480087
	v_cmp_eq_u32_e64 s[48:49], v36, 4                          // 000000002CBC: D0CA0030 00010924
	buffer_load_dwordx4 v[14:17], v38, s[20:23], 0 offen       // 000000002CC4: E05C1000 80050E26
	buffer_load_dwordx4 v[6:9], v23, s[12:15], 0 offen         // 000000002CCC: E05C1000 80030617
	v_add_u32_e32 v23, 0x80, v23                               // 000000002CD4: 682E2EFF 00000080
	v_add_u32_e32 v38, 0x80, v38                               // 000000002CDC: 684C4CFF 00000080
	s_waitcnt vmcnt(0) expcnt(0) lgkmcnt(0)                    // 000000002CE4: BF8C0000
	s_barrier                                                  // 000000002CE8: BF8A0000
	v_mov_b32_e32 v18, 0                                       // 000000002CEC: 7E240280
	v_mov_b32_e32 v10, 0                                       // 000000002CF0: 7E140280
	v_mov_b32_e32 v19, 0                                       // 000000002CF4: 7E260280
	v_mov_b32_e32 v11, 0                                       // 000000002CF8: 7E160280
	v_mov_b32_e32 v20, 0                                       // 000000002CFC: 7E280280
	v_mov_b32_e32 v12, 0                                       // 000000002D00: 7E180280
	v_mov_b32_e32 v21, 0                                       // 000000002D04: 7E2A0280
	v_mov_b32_e32 v13, 0                                       // 000000002D08: 7E1A0280
	s_mov_b64 exec, s[36:37]                                   // 000000002D0C: BEFE0124
	buffer_load_dwordx4 v[18:21], v38, s[20:23], 0 offen       // 000000002D10: E05C1000 80051226
	buffer_load_dwordx4 v[10:13], v23, s[12:15], 0 offen       // 000000002D18: E05C1000 80030A17
	s_mov_b64 exec, -1                                         // 000000002D20: BEFE01C1
	v_add_u32_e32 v23, 0x80, v23                               // 000000002D24: 682E2EFF 00000080
	v_add_u32_e32 v38, 0x80, v38                               // 000000002D2C: 684C4CFF 00000080
	v_mov_b32_e32 v32, 0                                       // 000000002D34: 7E400280
	v_and_b32_e32 v28, 0xffff, v6                              // 000000002D38: 26380CFF 0000FFFF
	v_lshrrev_b32_e32 v29, 16, v6                              // 000000002D40: 203A0C90
	v_and_b32_e32 v30, 0xffff, v14                             // 000000002D44: 263C1CFF 0000FFFF
	v_lshrrev_b32_e32 v31, 16, v14                             // 000000002D4C: 203E1C90
	v_cvt_f32_f16_e32 v28, v28                                 // 000000002D50: 7E38171C
	v_cvt_f32_f16_e32 v30, v30                                 // 000000002D54: 7E3C171E
	v_cvt_f32_f16_e32 v29, v29                                 // 000000002D58: 7E3A171D
	v_cvt_f32_f16_e32 v31, v31                                 // 000000002D5C: 7E3E171F
	v_fma_f32 v32, v28, v30, v32                               // 000000002D60: D1CB0020 04823D1C
	v_fma_f32 v32, v29, v31, v32                               // 000000002D68: D1CB0020 04823F1D
	v_and_b32_e32 v28, 0xffff, v7                              // 000000002D70: 26380EFF 0000FFFF
	v_lshrrev_b32_e32 v29, 16, v7                              // 000000002D78: 203A0E90
	v_and_b32_e32 v30, 0xffff, v15                             // 000000002D7C: 263C1EFF 0000FFFF
	v_lshrrev_b32_e32 v31, 16, v15                             // 000000002D84: 203E1E90
	v_cvt_f32_f16_e32 v28, v28                                 // 000000002D88: 7E38171C
	v_cvt_f32_f16_e32 v30, v30                                 // 000000002D8C: 7E3C171E
	v_cvt_f32_f16_e32 v29, v29                                 // 000000002D90: 7E3A171D
	v_cvt_f32_f16_e32 v31, v31                                 // 000000002D94: 7E3E171F
	v_fma_f32 v32, v28, v30, v32                               // 000000002D98: D1CB0020 04823D1C
	v_fma_f32 v32, v29, v31, v32                               // 000000002DA0: D1CB0020 04823F1D
	v_and_b32_e32 v28, 0xffff, v8                              // 000000002DA8: 263810FF 0000FFFF
	v_lshrrev_b32_e32 v29, 16, v8                              // 000000002DB0: 203A1090
	v_and_b32_e32 v30, 0xffff, v16                             // 000000002DB4: 263C20FF 0000FFFF
	v_lshrrev_b32_e32 v31, 16, v16                             // 000000002DBC: 203E2090
	v_cvt_f32_f16_e32 v28, v28                                 // 000000002DC0: 7E38171C
	v_cvt_f32_f16_e32 v30, v30                                 // 000000002DC4: 7E3C171E
	v_cvt_f32_f16_e32 v29, v29                                 // 000000002DC8: 7E3A171D
	v_cvt_f32_f16_e32 v31, v31                                 // 000000002DCC: 7E3E171F
	v_fma_f32 v32, v28, v30, v32                               // 000000002DD0: D1CB0020 04823D1C
	v_fma_f32 v32, v29, v31, v32                               // 000000002DD8: D1CB0020 04823F1D
	v_and_b32_e32 v28, 0xffff, v9                              // 000000002DE0: 263812FF 0000FFFF
	v_lshrrev_b32_e32 v29, 16, v9                              // 000000002DE8: 203A1290
	v_and_b32_e32 v30, 0xffff, v17                             // 000000002DEC: 263C22FF 0000FFFF
	v_lshrrev_b32_e32 v31, 16, v17                             // 000000002DF4: 203E2290
	v_cvt_f32_f16_e32 v28, v28                                 // 000000002DF8: 7E38171C
	v_cvt_f32_f16_e32 v30, v30                                 // 000000002DFC: 7E3C171E
	v_cvt_f32_f16_e32 v29, v29                                 // 000000002E00: 7E3A171D
	v_cvt_f32_f16_e32 v31, v31                                 // 000000002E04: 7E3E171F
	v_fma_f32 v32, v28, v30, v32                               // 000000002E08: D1CB0020 04823D1C
	v_fma_f32 v32, v29, v31, v32                               // 000000002E10: D1CB0020 04823F1D
	ds_write_b32 v24, v32                                      // 000000002E18: D81A0000 00002018
	s_waitcnt lgkmcnt(0)                                       // 000000002E20: BF8CC07F
	s_mov_b64 exec, s[48:49]                                   // 000000002E24: BEFE0130
	ds_read_b128 v[28:31], v26                                 // 000000002E28: D9FE0000 1C00001A
	s_waitcnt lgkmcnt(0)                                       // 000000002E30: BF8CC07F
	ds_read_b128 v[32:35], v27                                 // 000000002E34: D9FE0000 2000001B
	s_waitcnt lgkmcnt(0)                                       // 000000002E3C: BF8CC07F
	v_add_f32_e32 v22, v28, v22                                // 000000002E40: 022C2D1C
	v_add_f32_e32 v22, v29, v22                                // 000000002E44: 022C2D1D
	v_add_f32_e32 v22, v30, v22                                // 000000002E48: 022C2D1E
	v_add_f32_e32 v22, v31, v22                                // 000000002E4C: 022C2D1F
	v_add_f32_e32 v22, v32, v22                                // 000000002E50: 022C2D20
	v_add_f32_e32 v22, v33, v22                                // 000000002E54: 022C2D21
	v_add_f32_e32 v22, v34, v22                                // 000000002E58: 022C2D22
	v_add_f32_e32 v22, v35, v22                                // 000000002E5C: 022C2D23
	s_mov_b64 exec, -1                                         // 000000002E60: BEFE01C1
	s_waitcnt vmcnt(0) expcnt(0) lgkmcnt(0)                    // 000000002E64: BF8C0000
	s_barrier                                                  // 000000002E68: BF8A0000
	v_mov_b32_e32 v32, 0                                       // 000000002E6C: 7E400280
	v_and_b32_e32 v28, 0xffff, v10                             // 000000002E70: 263814FF 0000FFFF
	v_lshrrev_b32_e32 v29, 16, v10                             // 000000002E78: 203A1490
	v_and_b32_e32 v30, 0xffff, v18                             // 000000002E7C: 263C24FF 0000FFFF
	v_lshrrev_b32_e32 v31, 16, v18                             // 000000002E84: 203E2490
	v_cvt_f32_f16_e32 v28, v28                                 // 000000002E88: 7E38171C
	v_cvt_f32_f16_e32 v30, v30                                 // 000000002E8C: 7E3C171E
	v_cvt_f32_f16_e32 v29, v29                                 // 000000002E90: 7E3A171D
	v_cvt_f32_f16_e32 v31, v31                                 // 000000002E94: 7E3E171F
	v_fma_f32 v32, v28, v30, v32                               // 000000002E98: D1CB0020 04823D1C
	v_fma_f32 v32, v29, v31, v32                               // 000000002EA0: D1CB0020 04823F1D
	v_and_b32_e32 v28, 0xffff, v11                             // 000000002EA8: 263816FF 0000FFFF
	v_lshrrev_b32_e32 v29, 16, v11                             // 000000002EB0: 203A1690
	v_and_b32_e32 v30, 0xffff, v19                             // 000000002EB4: 263C26FF 0000FFFF
	v_lshrrev_b32_e32 v31, 16, v19                             // 000000002EBC: 203E2690
	v_cvt_f32_f16_e32 v28, v28                                 // 000000002EC0: 7E38171C
	v_cvt_f32_f16_e32 v30, v30                                 // 000000002EC4: 7E3C171E
	v_cvt_f32_f16_e32 v29, v29                                 // 000000002EC8: 7E3A171D
	v_cvt_f32_f16_e32 v31, v31                                 // 000000002ECC: 7E3E171F
	v_fma_f32 v32, v28, v30, v32                               // 000000002ED0: D1CB0020 04823D1C
	v_fma_f32 v32, v29, v31, v32                               // 000000002ED8: D1CB0020 04823F1D
	v_and_b32_e32 v28, 0xffff, v12                             // 000000002EE0: 263818FF 0000FFFF
	v_lshrrev_b32_e32 v29, 16, v12                             // 000000002EE8: 203A1890
	v_and_b32_e32 v30, 0xffff, v20                             // 000000002EEC: 263C28FF 0000FFFF
	v_lshrrev_b32_e32 v31, 16, v20                             // 000000002EF4: 203E2890
	v_cvt_f32_f16_e32 v28, v28                                 // 000000002EF8: 7E38171C
	v_cvt_f32_f16_e32 v30, v30                                 // 000000002EFC: 7E3C171E
	v_cvt_f32_f16_e32 v29, v29                                 // 000000002F00: 7E3A171D
	v_cvt_f32_f16_e32 v31, v31                                 // 000000002F04: 7E3E171F
	v_fma_f32 v32, v28, v30, v32                               // 000000002F08: D1CB0020 04823D1C
	v_fma_f32 v32, v29, v31, v32                               // 000000002F10: D1CB0020 04823F1D
	v_and_b32_e32 v28, 0xffff, v13                             // 000000002F18: 26381AFF 0000FFFF
	v_lshrrev_b32_e32 v29, 16, v13                             // 000000002F20: 203A1A90
	v_and_b32_e32 v30, 0xffff, v21                             // 000000002F24: 263C2AFF 0000FFFF
	v_lshrrev_b32_e32 v31, 16, v21                             // 000000002F2C: 203E2A90
	v_cvt_f32_f16_e32 v28, v28                                 // 000000002F30: 7E38171C
	v_cvt_f32_f16_e32 v30, v30                                 // 000000002F34: 7E3C171E
	v_cvt_f32_f16_e32 v29, v29                                 // 000000002F38: 7E3A171D
	v_cvt_f32_f16_e32 v31, v31                                 // 000000002F3C: 7E3E171F
	v_fma_f32 v32, v28, v30, v32                               // 000000002F40: D1CB0020 04823D1C
	v_fma_f32 v32, v29, v31, v32                               // 000000002F48: D1CB0020 04823F1D
	ds_write_b32 v24, v32                                      // 000000002F50: D81A0000 00002018
	s_waitcnt lgkmcnt(0)                                       // 000000002F58: BF8CC07F
	s_mov_b64 exec, s[48:49]                                   // 000000002F5C: BEFE0130
	ds_read_b128 v[28:31], v26                                 // 000000002F60: D9FE0000 1C00001A
	s_waitcnt lgkmcnt(0)                                       // 000000002F68: BF8CC07F
	ds_read_b128 v[32:35], v27                                 // 000000002F6C: D9FE0000 2000001B
	s_waitcnt lgkmcnt(0)                                       // 000000002F74: BF8CC07F
	v_add_f32_e32 v22, v28, v22                                // 000000002F78: 022C2D1C
	v_add_f32_e32 v22, v29, v22                                // 000000002F7C: 022C2D1D
	v_add_f32_e32 v22, v30, v22                                // 000000002F80: 022C2D1E
	v_add_f32_e32 v22, v31, v22                                // 000000002F84: 022C2D1F
	v_add_f32_e32 v22, v32, v22                                // 000000002F88: 022C2D20
	v_add_f32_e32 v22, v33, v22                                // 000000002F8C: 022C2D21
	v_add_f32_e32 v22, v34, v22                                // 000000002F90: 022C2D22
	v_add_f32_e32 v22, v35, v22                                // 000000002F94: 022C2D23
	s_mov_b64 exec, -1                                         // 000000002F98: BEFE01C1
	s_mul_i32 s31, s8, 3                                       // 000000002F9C: 921F8308
	s_lshl_b32 s31, s31, 3                                     // 000000002FA0: 8E1F831F
	v_add_u32_e32 v23, s31, v4                                 // 000000002FA4: 682E081F
	s_mul_i32 s31, s52, 3                                      // 000000002FA8: 921F8334
	s_lshl_b32 s31, s31, 3                                     // 000000002FAC: 8E1F831F
	v_add_u32_e32 v38, s31, v37                                // 000000002FB0: 684C4A1F
	v_and_b32_e32 v36, 7, v0                                   // 000000002FB4: 26480087
	v_cmp_eq_u32_e64 s[48:49], v36, 6                          // 000000002FB8: D0CA0030 00010D24
	buffer_load_dwordx4 v[14:17], v38, s[20:23], 0 offen       // 000000002FC0: E05C1000 80050E26
	buffer_load_dwordx4 v[6:9], v23, s[12:15], 0 offen         // 000000002FC8: E05C1000 80030617
	v_add_u32_e32 v23, 0x80, v23                               // 000000002FD0: 682E2EFF 00000080
	v_add_u32_e32 v38, 0x80, v38                               // 000000002FD8: 684C4CFF 00000080
	s_waitcnt vmcnt(0) expcnt(0) lgkmcnt(0)                    // 000000002FE0: BF8C0000
	s_barrier                                                  // 000000002FE4: BF8A0000
	v_mov_b32_e32 v18, 0                                       // 000000002FE8: 7E240280
	v_mov_b32_e32 v10, 0                                       // 000000002FEC: 7E140280
	v_mov_b32_e32 v19, 0                                       // 000000002FF0: 7E260280
	v_mov_b32_e32 v11, 0                                       // 000000002FF4: 7E160280
	v_mov_b32_e32 v20, 0                                       // 000000002FF8: 7E280280
	v_mov_b32_e32 v12, 0                                       // 000000002FFC: 7E180280
	v_mov_b32_e32 v21, 0                                       // 000000003000: 7E2A0280
	v_mov_b32_e32 v13, 0                                       // 000000003004: 7E1A0280
	s_mov_b64 exec, s[36:37]                                   // 000000003008: BEFE0124
	buffer_load_dwordx4 v[18:21], v38, s[20:23], 0 offen       // 00000000300C: E05C1000 80051226
	buffer_load_dwordx4 v[10:13], v23, s[12:15], 0 offen       // 000000003014: E05C1000 80030A17
	s_mov_b64 exec, -1                                         // 00000000301C: BEFE01C1
	v_add_u32_e32 v23, 0x80, v23                               // 000000003020: 682E2EFF 00000080
	v_add_u32_e32 v38, 0x80, v38                               // 000000003028: 684C4CFF 00000080
	v_mov_b32_e32 v32, 0                                       // 000000003030: 7E400280
	v_and_b32_e32 v28, 0xffff, v6                              // 000000003034: 26380CFF 0000FFFF
	v_lshrrev_b32_e32 v29, 16, v6                              // 00000000303C: 203A0C90
	v_and_b32_e32 v30, 0xffff, v14                             // 000000003040: 263C1CFF 0000FFFF
	v_lshrrev_b32_e32 v31, 16, v14                             // 000000003048: 203E1C90
	v_cvt_f32_f16_e32 v28, v28                                 // 00000000304C: 7E38171C
	v_cvt_f32_f16_e32 v30, v30                                 // 000000003050: 7E3C171E
	v_cvt_f32_f16_e32 v29, v29                                 // 000000003054: 7E3A171D
	v_cvt_f32_f16_e32 v31, v31                                 // 000000003058: 7E3E171F
	v_fma_f32 v32, v28, v30, v32                               // 00000000305C: D1CB0020 04823D1C
	v_fma_f32 v32, v29, v31, v32                               // 000000003064: D1CB0020 04823F1D
	v_and_b32_e32 v28, 0xffff, v7                              // 00000000306C: 26380EFF 0000FFFF
	v_lshrrev_b32_e32 v29, 16, v7                              // 000000003074: 203A0E90
	v_and_b32_e32 v30, 0xffff, v15                             // 000000003078: 263C1EFF 0000FFFF
	v_lshrrev_b32_e32 v31, 16, v15                             // 000000003080: 203E1E90
	v_cvt_f32_f16_e32 v28, v28                                 // 000000003084: 7E38171C
	v_cvt_f32_f16_e32 v30, v30                                 // 000000003088: 7E3C171E
	v_cvt_f32_f16_e32 v29, v29                                 // 00000000308C: 7E3A171D
	v_cvt_f32_f16_e32 v31, v31                                 // 000000003090: 7E3E171F
	v_fma_f32 v32, v28, v30, v32                               // 000000003094: D1CB0020 04823D1C
	v_fma_f32 v32, v29, v31, v32                               // 00000000309C: D1CB0020 04823F1D
	v_and_b32_e32 v28, 0xffff, v8                              // 0000000030A4: 263810FF 0000FFFF
	v_lshrrev_b32_e32 v29, 16, v8                              // 0000000030AC: 203A1090
	v_and_b32_e32 v30, 0xffff, v16                             // 0000000030B0: 263C20FF 0000FFFF
	v_lshrrev_b32_e32 v31, 16, v16                             // 0000000030B8: 203E2090
	v_cvt_f32_f16_e32 v28, v28                                 // 0000000030BC: 7E38171C
	v_cvt_f32_f16_e32 v30, v30                                 // 0000000030C0: 7E3C171E
	v_cvt_f32_f16_e32 v29, v29                                 // 0000000030C4: 7E3A171D
	v_cvt_f32_f16_e32 v31, v31                                 // 0000000030C8: 7E3E171F
	v_fma_f32 v32, v28, v30, v32                               // 0000000030CC: D1CB0020 04823D1C
	v_fma_f32 v32, v29, v31, v32                               // 0000000030D4: D1CB0020 04823F1D
	v_and_b32_e32 v28, 0xffff, v9                              // 0000000030DC: 263812FF 0000FFFF
	v_lshrrev_b32_e32 v29, 16, v9                              // 0000000030E4: 203A1290
	v_and_b32_e32 v30, 0xffff, v17                             // 0000000030E8: 263C22FF 0000FFFF
	v_lshrrev_b32_e32 v31, 16, v17                             // 0000000030F0: 203E2290
	v_cvt_f32_f16_e32 v28, v28                                 // 0000000030F4: 7E38171C
	v_cvt_f32_f16_e32 v30, v30                                 // 0000000030F8: 7E3C171E
	v_cvt_f32_f16_e32 v29, v29                                 // 0000000030FC: 7E3A171D
	v_cvt_f32_f16_e32 v31, v31                                 // 000000003100: 7E3E171F
	v_fma_f32 v32, v28, v30, v32                               // 000000003104: D1CB0020 04823D1C
	v_fma_f32 v32, v29, v31, v32                               // 00000000310C: D1CB0020 04823F1D
	ds_write_b32 v24, v32                                      // 000000003114: D81A0000 00002018
	s_waitcnt lgkmcnt(0)                                       // 00000000311C: BF8CC07F
	s_mov_b64 exec, s[48:49]                                   // 000000003120: BEFE0130
	ds_read_b128 v[28:31], v26                                 // 000000003124: D9FE0000 1C00001A
	s_waitcnt lgkmcnt(0)                                       // 00000000312C: BF8CC07F
	ds_read_b128 v[32:35], v27                                 // 000000003130: D9FE0000 2000001B
	s_waitcnt lgkmcnt(0)                                       // 000000003138: BF8CC07F
	v_add_f32_e32 v22, v28, v22                                // 00000000313C: 022C2D1C
	v_add_f32_e32 v22, v29, v22                                // 000000003140: 022C2D1D
	v_add_f32_e32 v22, v30, v22                                // 000000003144: 022C2D1E
	v_add_f32_e32 v22, v31, v22                                // 000000003148: 022C2D1F
	v_add_f32_e32 v22, v32, v22                                // 00000000314C: 022C2D20
	v_add_f32_e32 v22, v33, v22                                // 000000003150: 022C2D21
	v_add_f32_e32 v22, v34, v22                                // 000000003154: 022C2D22
	v_add_f32_e32 v22, v35, v22                                // 000000003158: 022C2D23
	s_mov_b64 exec, -1                                         // 00000000315C: BEFE01C1
	s_waitcnt vmcnt(0) expcnt(0) lgkmcnt(0)                    // 000000003160: BF8C0000
	s_barrier                                                  // 000000003164: BF8A0000
	v_mov_b32_e32 v32, 0                                       // 000000003168: 7E400280
	v_and_b32_e32 v28, 0xffff, v10                             // 00000000316C: 263814FF 0000FFFF
	v_lshrrev_b32_e32 v29, 16, v10                             // 000000003174: 203A1490
	v_and_b32_e32 v30, 0xffff, v18                             // 000000003178: 263C24FF 0000FFFF
	v_lshrrev_b32_e32 v31, 16, v18                             // 000000003180: 203E2490
	v_cvt_f32_f16_e32 v28, v28                                 // 000000003184: 7E38171C
	v_cvt_f32_f16_e32 v30, v30                                 // 000000003188: 7E3C171E
	v_cvt_f32_f16_e32 v29, v29                                 // 00000000318C: 7E3A171D
	v_cvt_f32_f16_e32 v31, v31                                 // 000000003190: 7E3E171F
	v_fma_f32 v32, v28, v30, v32                               // 000000003194: D1CB0020 04823D1C
	v_fma_f32 v32, v29, v31, v32                               // 00000000319C: D1CB0020 04823F1D
	v_and_b32_e32 v28, 0xffff, v11                             // 0000000031A4: 263816FF 0000FFFF
	v_lshrrev_b32_e32 v29, 16, v11                             // 0000000031AC: 203A1690
	v_and_b32_e32 v30, 0xffff, v19                             // 0000000031B0: 263C26FF 0000FFFF
	v_lshrrev_b32_e32 v31, 16, v19                             // 0000000031B8: 203E2690
	v_cvt_f32_f16_e32 v28, v28                                 // 0000000031BC: 7E38171C
	v_cvt_f32_f16_e32 v30, v30                                 // 0000000031C0: 7E3C171E
	v_cvt_f32_f16_e32 v29, v29                                 // 0000000031C4: 7E3A171D
	v_cvt_f32_f16_e32 v31, v31                                 // 0000000031C8: 7E3E171F
	v_fma_f32 v32, v28, v30, v32                               // 0000000031CC: D1CB0020 04823D1C
	v_fma_f32 v32, v29, v31, v32                               // 0000000031D4: D1CB0020 04823F1D
	v_and_b32_e32 v28, 0xffff, v12                             // 0000000031DC: 263818FF 0000FFFF
	v_lshrrev_b32_e32 v29, 16, v12                             // 0000000031E4: 203A1890
	v_and_b32_e32 v30, 0xffff, v20                             // 0000000031E8: 263C28FF 0000FFFF
	v_lshrrev_b32_e32 v31, 16, v20                             // 0000000031F0: 203E2890
	v_cvt_f32_f16_e32 v28, v28                                 // 0000000031F4: 7E38171C
	v_cvt_f32_f16_e32 v30, v30                                 // 0000000031F8: 7E3C171E
	v_cvt_f32_f16_e32 v29, v29                                 // 0000000031FC: 7E3A171D
	v_cvt_f32_f16_e32 v31, v31                                 // 000000003200: 7E3E171F
	v_fma_f32 v32, v28, v30, v32                               // 000000003204: D1CB0020 04823D1C
	v_fma_f32 v32, v29, v31, v32                               // 00000000320C: D1CB0020 04823F1D
	v_and_b32_e32 v28, 0xffff, v13                             // 000000003214: 26381AFF 0000FFFF
	v_lshrrev_b32_e32 v29, 16, v13                             // 00000000321C: 203A1A90
	v_and_b32_e32 v30, 0xffff, v21                             // 000000003220: 263C2AFF 0000FFFF
	v_lshrrev_b32_e32 v31, 16, v21                             // 000000003228: 203E2A90
	v_cvt_f32_f16_e32 v28, v28                                 // 00000000322C: 7E38171C
	v_cvt_f32_f16_e32 v30, v30                                 // 000000003230: 7E3C171E
	v_cvt_f32_f16_e32 v29, v29                                 // 000000003234: 7E3A171D
	v_cvt_f32_f16_e32 v31, v31                                 // 000000003238: 7E3E171F
	v_fma_f32 v32, v28, v30, v32                               // 00000000323C: D1CB0020 04823D1C
	v_fma_f32 v32, v29, v31, v32                               // 000000003244: D1CB0020 04823F1D
	ds_write_b32 v24, v32                                      // 00000000324C: D81A0000 00002018
	s_waitcnt lgkmcnt(0)                                       // 000000003254: BF8CC07F
	s_mov_b64 exec, s[48:49]                                   // 000000003258: BEFE0130
	ds_read_b128 v[28:31], v26                                 // 00000000325C: D9FE0000 1C00001A
	s_waitcnt lgkmcnt(0)                                       // 000000003264: BF8CC07F
	ds_read_b128 v[32:35], v27                                 // 000000003268: D9FE0000 2000001B
	s_waitcnt lgkmcnt(0)                                       // 000000003270: BF8CC07F
	v_add_f32_e32 v22, v28, v22                                // 000000003274: 022C2D1C
	v_add_f32_e32 v22, v29, v22                                // 000000003278: 022C2D1D
	v_add_f32_e32 v22, v30, v22                                // 00000000327C: 022C2D1E
	v_add_f32_e32 v22, v31, v22                                // 000000003280: 022C2D1F
	v_add_f32_e32 v22, v32, v22                                // 000000003284: 022C2D20
	v_add_f32_e32 v22, v33, v22                                // 000000003288: 022C2D21
	v_add_f32_e32 v22, v34, v22                                // 00000000328C: 022C2D22
	v_add_f32_e32 v22, v35, v22                                // 000000003290: 022C2D23
	s_mov_b64 exec, -1                                         // 000000003294: BEFE01C1
	s_mov_b64 exec, s[38:39]                                   // 000000003298: BEFE0126
	buffer_store_dword v22, v5, s[16:19], 0 offen              // 00000000329C: E0701000 80041605

00000000000032a4 <label_03A9>:
	s_waitcnt vmcnt(0) expcnt(0) lgkmcnt(0)                    // 0000000032A4: BF8C0000
	s_endpgm                                                   // 0000000032A8: BF810000
